;; amdgpu-corpus repo=ROCm/rocFFT kind=compiled arch=gfx950 opt=O3
	.text
	.amdgcn_target "amdgcn-amd-amdhsa--gfx950"
	.amdhsa_code_object_version 6
	.protected	fft_rtc_back_len112_factors_4_7_4_wgs_448_tpt_28_sp_op_CI_CI_sbrc_z_xy_aligned ; -- Begin function fft_rtc_back_len112_factors_4_7_4_wgs_448_tpt_28_sp_op_CI_CI_sbrc_z_xy_aligned
	.globl	fft_rtc_back_len112_factors_4_7_4_wgs_448_tpt_28_sp_op_CI_CI_sbrc_z_xy_aligned
	.p2align	8
	.type	fft_rtc_back_len112_factors_4_7_4_wgs_448_tpt_28_sp_op_CI_CI_sbrc_z_xy_aligned,@function
fft_rtc_back_len112_factors_4_7_4_wgs_448_tpt_28_sp_op_CI_CI_sbrc_z_xy_aligned: ; @fft_rtc_back_len112_factors_4_7_4_wgs_448_tpt_28_sp_op_CI_CI_sbrc_z_xy_aligned
; %bb.0:
	s_load_dwordx8 s[4:11], s[0:1], 0x0
	s_waitcnt lgkmcnt(0)
	s_load_dwordx4 s[12:15], s[8:9], 0x8
	s_load_dword s16, s[10:11], 0x10
	s_waitcnt lgkmcnt(0)
	s_add_i32 s3, s12, -1
	s_lshr_b32 s3, s3, 4
	s_add_i32 s8, s3, 1
	s_mul_i32 s9, s8, s14
	v_cvt_f32_u32_e32 v2, s9
	v_cvt_f32_u32_e32 v1, s8
	s_load_dwordx4 s[12:15], s[10:11], 0x0
	s_waitcnt lgkmcnt(0)
	s_sub_i32 s15, 0, s9
	v_rcp_iflag_f32_e32 v2, v2
	v_rcp_iflag_f32_e32 v1, v1
	v_mul_f32_e32 v2, 0x4f7ffffe, v2
	v_cvt_u32_f32_e32 v2, v2
	v_mul_f32_e32 v1, 0x4f7ffffe, v1
	v_cvt_u32_f32_e32 v1, v1
	v_readfirstlane_b32 s18, v2
	s_mul_i32 s15, s15, s18
	s_mul_hi_u32 s15, s18, s15
	s_add_i32 s18, s18, s15
	s_mul_hi_u32 s15, s2, s18
	s_mul_i32 s18, s15, s9
	s_sub_i32 s18, s2, s18
	s_add_i32 s19, s15, 1
	s_sub_i32 s20, s18, s9
	s_cmp_ge_u32 s18, s9
	s_cselect_b32 s15, s19, s15
	s_cselect_b32 s18, s20, s18
	s_add_i32 s19, s15, 1
	s_cmp_ge_u32 s18, s9
	v_readfirstlane_b32 s17, v1
	s_cselect_b32 s15, s19, s15
	s_not_b32 s3, s3
	s_mul_i32 s3, s3, s17
	s_mul_i32 s9, s15, s9
	s_mul_hi_u32 s3, s17, s3
	s_sub_i32 s9, s2, s9
	s_add_i32 s17, s17, s3
	s_mul_hi_u32 s3, s9, s17
	s_mul_i32 s18, s3, s8
	s_sub_i32 s9, s9, s18
	s_add_i32 s19, s3, 1
	s_sub_i32 s18, s9, s8
	s_cmp_ge_u32 s9, s8
	s_cselect_b32 s3, s19, s3
	s_cselect_b32 s9, s18, s9
	s_add_i32 s18, s3, 1
	s_cmp_ge_u32 s9, s8
	s_cselect_b32 s18, s18, s3
	s_mul_hi_u32 s3, s2, s17
	s_mul_i32 s3, s3, s8
	s_sub_i32 s2, s2, s3
	s_sub_i32 s3, s2, s8
	s_cmp_ge_u32 s2, s8
	s_cselect_b32 s2, s3, s2
	s_sub_i32 s3, s2, s8
	s_cmp_ge_u32 s2, s8
	s_cselect_b32 s2, s3, s2
	s_lshl_b32 s19, s2, 4
	s_mul_i32 s3, s18, s16
	s_mul_i32 s2, s19, s14
	s_add_i32 s2, s2, s3
	s_lshl_b64 s[6:7], s[6:7], 3
	s_add_u32 s16, s10, s6
	s_addc_u32 s17, s11, s7
	s_load_dwordx2 s[20:21], s[16:17], 0x0
	s_load_dwordx4 s[8:11], s[0:1], 0x58
	s_load_dwordx2 s[22:23], s[0:1], 0x20
	v_mul_u32_u24_e32 v1, 0x24a, v0
	v_lshrrev_b32_e32 v1, 16, v1
	s_waitcnt lgkmcnt(0)
	s_mul_i32 s0, s21, s15
	s_mul_hi_u32 s1, s20, s15
	s_add_i32 s1, s1, s0
	v_mul_lo_u16_e32 v2, 0x70, v1
	s_add_u32 s16, s22, s6
	v_sub_u16_e32 v18, v0, v2
	s_addc_u32 s17, s23, s7
	v_mad_u64_u32 v[2:3], s[6:7], s12, v18, 0
	s_mul_i32 s0, s20, s15
	v_mov_b32_e32 v4, v3
	v_mad_u64_u32 v[4:5], s[6:7], s13, v18, v[4:5]
	s_lshl_b64 s[0:1], s[0:1], 3
	s_mov_b32 s3, 0
	s_add_u32 s6, s8, s0
	s_addc_u32 s7, s9, s1
	s_lshl_b64 s[0:1], s[2:3], 3
	s_add_u32 s0, s6, s0
	v_mov_b32_e32 v3, v4
	s_addc_u32 s1, s7, s1
	v_mul_lo_u32 v4, s14, v1
	v_mov_b32_e32 v5, 0
	v_lshl_add_u64 v[2:3], v[2:3], 3, s[0:1]
	s_lshl_b32 s0, s14, 2
	v_lshl_add_u64 v[6:7], v[4:5], 3, v[2:3]
	v_add_u32_e32 v4, s0, v4
	v_lshl_add_u64 v[8:9], v[4:5], 3, v[2:3]
	v_add_u32_e32 v4, s0, v4
	;; [unrolled: 2-line block ×3, first 2 shown]
	v_lshl_add_u64 v[2:3], v[4:5], 3, v[2:3]
	global_load_dwordx2 v[4:5], v[6:7], off
	global_load_dwordx2 v[12:13], v[8:9], off
	;; [unrolled: 1-line block ×4, first 2 shown]
	v_mov_b32_e32 v2, 15
	v_mov_b32_e32 v3, 28
	v_mul_u32_u24_e32 v6, 0x925, v0
	v_and_b32_sdwa v2, v6, v2 dst_sel:DWORD dst_unused:UNUSED_PAD src0_sel:WORD_1 src1_sel:DWORD
	v_mul_lo_u16_sdwa v3, v6, v3 dst_sel:DWORD dst_unused:UNUSED_PAD src0_sel:WORD_1 src1_sel:DWORD
	v_mul_lo_u16_e32 v2, 0x70, v2
	v_sub_u16_e32 v19, v0, v3
	v_mul_u32_u24_e32 v6, 0x380, v1
	v_lshlrev_b32_e32 v20, 3, v2
	v_lshlrev_b32_e32 v1, 3, v19
	;; [unrolled: 1-line block ×3, first 2 shown]
	v_add3_u32 v18, 0, v20, v1
	v_add3_u32 v1, 0, v1, v20
	;; [unrolled: 1-line block ×3, first 2 shown]
	s_load_dwordx4 s[0:3], s[22:23], 0x0
	s_load_dwordx2 s[6:7], s[22:23], 0x10
	s_load_dwordx2 s[8:9], s[16:17], 0x0
	v_mad_u32_u24 v21, v19, 24, v1
	v_cmp_gt_u16_e32 vcc, 16, v19
	s_waitcnt vmcnt(2)
	ds_write2st64_b64 v2, v[4:5], v[12:13] offset1:7
	s_waitcnt vmcnt(0)
	ds_write2st64_b64 v2, v[14:15], v[16:17] offset0:14 offset1:21
	s_waitcnt lgkmcnt(0)
	s_barrier
	ds_read2_b64 v[2:5], v1 offset0:28 offset1:56
	ds_read_b64 v[6:7], v18
	ds_read_b64 v[8:9], v1 offset:672
	s_waitcnt lgkmcnt(0)
	s_barrier
	v_pk_add_f32 v[4:5], v[6:7], v[4:5] neg_lo:[0,1] neg_hi:[0,1]
	v_pk_add_f32 v[8:9], v[2:3], v[8:9] neg_lo:[0,1] neg_hi:[0,1]
	v_pk_fma_f32 v[10:11], v[6:7], 2.0, v[4:5] op_sel_hi:[1,0,1] neg_lo:[0,0,1] neg_hi:[0,0,1]
	v_pk_fma_f32 v[2:3], v[2:3], 2.0, v[8:9] op_sel_hi:[1,0,1] neg_lo:[0,0,1] neg_hi:[0,0,1]
	v_pk_add_f32 v[12:13], v[4:5], v[8:9] op_sel:[1,0] op_sel_hi:[0,1] neg_lo:[0,1] neg_hi:[0,1]
	v_pk_add_f32 v[6:7], v[4:5], v[8:9] op_sel:[1,0] op_sel_hi:[0,1]
	v_pk_add_f32 v[14:15], v[10:11], v[2:3] neg_lo:[0,1] neg_hi:[0,1]
	v_mov_b32_e32 v2, v7
	v_mov_b32_e32 v3, v12
	;; [unrolled: 1-line block ×4, first 2 shown]
	v_pk_fma_f32 v[10:11], v[10:11], 2.0, v[14:15] op_sel_hi:[1,0,1] neg_lo:[0,0,1] neg_hi:[0,0,1]
	v_pk_fma_f32 v[16:17], v[4:5], 2.0, v[2:3] op_sel_hi:[1,0,1] neg_lo:[0,0,1] neg_hi:[0,0,1]
	ds_write2_b64 v21, v[14:15], v[8:9] offset0:2 offset1:3
	ds_write2_b64 v21, v[10:11], v[16:17] offset1:1
	s_waitcnt lgkmcnt(0)
	s_barrier
	s_waitcnt lgkmcnt(0)
                                        ; implicit-def: $vgpr5
                                        ; implicit-def: $vgpr9
	s_and_saveexec_b64 s[12:13], vcc
	s_cbranch_execz .LBB0_2
; %bb.1:
	ds_read2_b64 v[12:15], v1 offset0:16 offset1:32
	ds_read_b64 v[10:11], v18
	ds_read2_b64 v[6:9], v1 offset0:48 offset1:64
	ds_read2_b64 v[2:5], v1 offset0:80 offset1:96
	s_waitcnt lgkmcnt(3)
	v_mov_b32_e32 v17, v13
	v_mov_b32_e32 v16, v12
	s_waitcnt lgkmcnt(1)
	v_mov_b32_e32 v12, v7
	v_mov_b32_e32 v7, v6
.LBB0_2:
	s_or_b64 exec, exec, s[12:13]
	s_waitcnt lgkmcnt(0)
	s_barrier
	s_and_saveexec_b64 s[12:13], vcc
	s_cbranch_execz .LBB0_4
; %bb.3:
	v_and_b32_e32 v21, 3, v19
	v_mul_u32_u24_e32 v6, 6, v21
	v_lshlrev_b32_e32 v6, 3, v6
	global_load_dwordx4 v[22:25], v6, s[4:5]
	global_load_dwordx4 v[26:29], v6, s[4:5] offset:32
	global_load_dwordx4 v[30:33], v6, s[4:5] offset:16
	v_mov_b32_e32 v13, v7
	v_mov_b32_e32 v44, v7
	v_lshrrev_b32_e32 v7, 2, v19
	v_mul_u32_u24_e32 v7, 28, v7
	v_or_b32_e32 v7, v7, v21
	v_lshlrev_b32_e32 v7, 3, v7
	v_mov_b32_e32 v6, v9
	v_mov_b32_e32 v34, v9
	;; [unrolled: 1-line block ×11, first 2 shown]
	v_add3_u32 v37, 0, v7, v20
	s_mov_b32 s16, 0xbeae86e6
	s_mov_b32 s17, 0x3f08b237
	;; [unrolled: 1-line block ×5, first 2 shown]
	s_waitcnt vmcnt(2)
	v_pk_mul_f32 v[16:17], v[16:17], v[22:23] op_sel_hi:[0,1]
	s_waitcnt vmcnt(1)
	v_pk_mul_f32 v[4:5], v[4:5], v[28:29] op_sel_hi:[0,1]
	s_waitcnt vmcnt(0)
	v_mov_b32_e32 v20, v33
	v_mov_b32_e32 v54, v31
	v_pk_mul_f32 v[14:15], v[14:15], v[24:25] op_sel_hi:[0,1]
	v_pk_mul_f32 v[2:3], v[2:3], v[26:27] op_sel_hi:[0,1]
	v_pk_mul_f32 v[8:9], v[8:9], v[32:33]
	v_pk_mul_f32 v[44:45], v[44:45], v[30:31]
	;; [unrolled: 1-line block ×6, first 2 shown]
	v_pk_fma_f32 v[40:41], v[40:41], v[28:29], v[4:5] op_sel:[0,0,1] op_sel_hi:[1,1,0] neg_lo:[0,0,1] neg_hi:[0,0,1]
	v_pk_fma_f32 v[4:5], v[42:43], v[28:29], v[4:5] op_sel:[0,0,1] op_sel_hi:[0,1,0]
	v_pk_fma_f32 v[28:29], v[36:37], v[22:23], v[16:17] op_sel:[0,0,1] op_sel_hi:[1,1,0] neg_lo:[0,0,1] neg_hi:[0,0,1]
	v_pk_fma_f32 v[16:17], v[38:39], v[22:23], v[16:17] op_sel:[0,0,1] op_sel_hi:[0,1,0]
	;; [unrolled: 2-line block ×3, first 2 shown]
	v_pk_fma_f32 v[26:27], v[46:47], v[24:25], v[14:15] op_sel:[0,0,1] op_sel_hi:[1,1,0] neg_lo:[0,0,1] neg_hi:[0,0,1]
	v_mov_b32_e32 v54, v57
	v_mov_b32_e32 v56, v59
	v_pk_fma_f32 v[14:15], v[48:49], v[24:25], v[14:15] op_sel:[0,0,1] op_sel_hi:[0,1,0]
	v_mov_b32_e32 v9, v28
	v_mov_b32_e32 v7, v40
	v_mov_b32_e32 v45, v26
	v_mov_b32_e32 v21, v22
	v_pk_fma_f32 v[12:13], v[12:13], v[30:31], v[54:55] neg_lo:[0,0,1] neg_hi:[0,0,1]
	v_pk_fma_f32 v[24:25], v[34:35], v[32:33], v[56:57] neg_lo:[0,0,1] neg_hi:[0,0,1]
	v_mov_b32_e32 v41, v5
	v_mov_b32_e32 v29, v17
	;; [unrolled: 1-line block ×4, first 2 shown]
	v_pk_add_f32 v[6:7], v[8:9], v[6:7]
	v_pk_add_f32 v[8:9], v[44:45], v[20:21]
	;; [unrolled: 1-line block ×4, first 2 shown]
	v_mov_b32_e32 v25, v6
	v_mov_b32_e32 v13, v8
	v_pk_add_f32 v[14:15], v[28:29], v[40:41] neg_lo:[0,1] neg_hi:[0,1]
	v_pk_add_f32 v[16:17], v[26:27], v[22:23] neg_lo:[0,1] neg_hi:[0,1]
	v_mov_b32_e32 v21, v12
	v_mov_b32_e32 v23, v24
	;; [unrolled: 1-line block ×4, first 2 shown]
	v_pk_add_f32 v[12:13], v[24:25], v[12:13] neg_lo:[0,1] neg_hi:[0,1]
	v_mov_b32_e32 v31, v15
	v_pk_add_f32 v[20:21], v[20:21], v[22:23]
	v_mov_b32_e32 v28, v12
	v_pk_add_f32 v[22:23], v[12:13], v[16:17]
	v_mov_b32_e32 v30, v12
	v_mov_b32_e32 v12, v16
	;; [unrolled: 1-line block ×5, first 2 shown]
	v_pk_add_f32 v[12:13], v[30:31], v[12:13] neg_lo:[0,1] neg_hi:[0,1]
	v_pk_add_f32 v[32:33], v[8:9], v[6:7]
	v_pk_add_f32 v[26:27], v[26:27], v[28:29] neg_lo:[0,1] neg_hi:[0,1]
	v_pk_mul_f32 v[12:13], v[12:13], s[20:21]
	v_pk_add_f32 v[24:25], v[20:21], v[32:33]
	v_mov_b32_e32 v20, v3
	v_pk_mul_f32 v[28:29], v[26:27], s[16:17]
	v_pk_fma_f32 v[26:27], v[26:27], s[16:17], v[12:13]
	v_mov_b32_e32 v33, v9
	s_mov_b32 s16, 0x3f4a47b2
	v_pk_add_f32 v[30:31], v[20:21], v[32:33] neg_lo:[0,1] neg_hi:[0,1]
	s_mov_b32 s17, 0x3d64c772
	v_mov_b32_e32 v33, v7
	v_mov_b32_e32 v20, v5
	v_pk_add_f32 v[20:21], v[32:33], v[20:21] neg_lo:[0,1] neg_hi:[0,1]
	s_mov_b32 s20, s17
	s_mov_b32 s21, s16
	v_pk_mul_f32 v[20:21], v[20:21], s[20:21]
	v_pk_add_f32 v[10:11], v[10:11], v[24:25]
	v_pk_mul_f32 v[34:35], v[30:31], s[16:17]
	v_pk_fma_f32 v[30:31], v[30:31], s[16:17], v[20:21]
	s_mov_b32 s16, 0xbf955555
	v_pk_add_f32 v[22:23], v[22:23], v[14:15]
	v_pk_fma_f32 v[24:25], v[24:25], s[16:17], v[10:11] op_sel_hi:[1,0,1]
	v_pk_fma_f32 v[26:27], v[22:23], s[14:15], v[26:27] op_sel_hi:[1,0,1]
	v_pk_add_f32 v[30:31], v[30:31], v[24:25]
	v_mov_b32_e32 v8, v5
	v_pk_add_f32 v[32:33], v[30:31], v[26:27]
	v_pk_add_f32 v[26:27], v[30:31], v[26:27] neg_lo:[0,1] neg_hi:[0,1]
	v_mov_b32_e32 v30, v32
	v_mov_b32_e32 v31, v27
	;; [unrolled: 1-line block ×3, first 2 shown]
	ds_write2_b64 v37, v[10:11], v[30:31] offset1:4
	v_pk_add_f32 v[10:11], v[16:17], v[14:15] neg_lo:[0,1] neg_hi:[0,1]
	s_mov_b32 s16, 0xbf5ff5aa
	v_mov_b32_e32 v14, v28
	v_mov_b32_e32 v15, v13
	v_pk_add_f32 v[2:3], v[8:9], v[6:7] neg_lo:[0,1] neg_hi:[0,1]
	s_mov_b32 s20, 0x3f3bfb3b
	v_mov_b32_e32 v4, v34
	v_mov_b32_e32 v5, v21
	;; [unrolled: 1-line block ×4, first 2 shown]
	v_pk_fma_f32 v[14:15], v[10:11], s[16:17], v[14:15] op_sel_hi:[1,0,1] neg_lo:[1,0,1] neg_hi:[1,0,1]
	v_pk_fma_f32 v[4:5], v[2:3], s[20:21], v[4:5] op_sel_hi:[1,0,1] neg_lo:[1,0,1] neg_hi:[1,0,1]
	;; [unrolled: 1-line block ×4, first 2 shown]
	v_pk_fma_f32 v[14:15], v[22:23], s[14:15], v[14:15] op_sel_hi:[1,0,1]
	v_pk_add_f32 v[4:5], v[4:5], v[24:25]
	v_pk_fma_f32 v[10:11], v[22:23], s[14:15], v[10:11] op_sel_hi:[1,0,1]
	v_pk_add_f32 v[2:3], v[2:3], v[24:25]
	v_pk_add_f32 v[6:7], v[4:5], v[14:15]
	v_pk_add_f32 v[4:5], v[4:5], v[14:15] neg_lo:[0,1] neg_hi:[0,1]
	v_pk_add_f32 v[12:13], v[2:3], v[10:11] neg_lo:[0,1] neg_hi:[0,1]
	v_pk_add_f32 v[2:3], v[2:3], v[10:11]
	v_mov_b32_e32 v8, v6
	v_mov_b32_e32 v9, v5
	;; [unrolled: 1-line block ×7, first 2 shown]
	ds_write2_b64 v37, v[8:9], v[10:11] offset0:8 offset1:12
	ds_write2_b64 v37, v[2:3], v[4:5] offset0:16 offset1:20
	ds_write_b64 v37, v[26:27] offset:192
.LBB0_4:
	s_or_b64 exec, exec, s[12:13]
	v_mul_u32_u24_e32 v2, 3, v19
	v_lshlrev_b32_e32 v6, 3, v2
	s_waitcnt lgkmcnt(0)
	s_barrier
	global_load_dwordx4 v[2:5], v6, s[4:5] offset:192
	global_load_dwordx2 v[10:11], v6, s[4:5] offset:208
	ds_read2_b64 v[6:9], v1 offset0:28 offset1:56
	ds_read_b64 v[12:13], v18
	ds_read_b64 v[14:15], v1 offset:672
	s_mul_i32 s5, s1, s19
	s_mul_hi_u32 s7, s0, s19
	s_mul_i32 s9, s9, s15
	s_mul_hi_u32 s12, s8, s15
	v_and_b32_e32 v21, 15, v0
	s_mul_i32 s4, s0, s19
	v_lshrrev_b32_e32 v20, 4, v0
	s_add_i32 s5, s7, s5
	s_add_i32 s9, s12, s9
	v_mad_u64_u32 v[18:19], s[12:13], s0, v21, 0
	v_mul_lo_u32 v16, v20, s6
	v_mul_u32_u24_e32 v22, 0x380, v21
	v_lshlrev_b32_e32 v20, 3, v20
	v_mov_b32_e32 v0, v19
	s_lshl_b64 s[4:5], s[4:5], 3
	s_mul_i32 s2, s18, s2
	s_mov_b32 s3, 0
	v_add3_u32 v32, 0, v22, v20
	v_mad_u64_u32 v[20:21], s[0:1], s1, v21, v[0:1]
	s_add_u32 s4, s10, s4
	s_addc_u32 s5, s11, s5
	s_lshl_b64 s[0:1], s[2:3], 3
	s_mul_i32 s8, s8, s15
	s_add_u32 s2, s4, s0
	s_addc_u32 s3, s5, s1
	s_lshl_b64 s[0:1], s[8:9], 3
	s_add_u32 s0, s2, s0
	s_waitcnt lgkmcnt(0)
	s_barrier
	v_mov_b32_e32 v19, v20
	s_addc_u32 s1, s3, s1
	v_mov_b32_e32 v17, 0
	s_mul_i32 s14, s6, 28
	v_lshl_add_u64 v[18:19], v[18:19], 3, s[0:1]
	v_lshl_add_u64 v[20:21], v[16:17], 3, v[18:19]
	v_add_u32_e32 v16, s14, v16
	v_lshl_add_u64 v[22:23], v[16:17], 3, v[18:19]
	v_add_u32_e32 v16, s14, v16
	s_waitcnt vmcnt(1)
	v_pk_mul_f32 v[24:25], v[2:3], v[6:7] op_sel:[0,1]
	v_pk_mul_f32 v[26:27], v[4:5], v[8:9] op_sel:[0,1]
	s_waitcnt vmcnt(0)
	v_pk_mul_f32 v[28:29], v[10:11], v[14:15] op_sel:[0,1]
	v_pk_fma_f32 v[30:31], v[2:3], v[6:7], v[24:25] op_sel:[0,0,1] op_sel_hi:[1,1,0]
	v_pk_fma_f32 v[2:3], v[2:3], v[6:7], v[24:25] op_sel:[0,0,1] op_sel_hi:[1,0,0] neg_lo:[1,0,0] neg_hi:[1,0,0]
	v_pk_fma_f32 v[6:7], v[4:5], v[8:9], v[26:27] op_sel:[0,0,1] op_sel_hi:[1,1,0]
	v_pk_fma_f32 v[4:5], v[4:5], v[8:9], v[26:27] op_sel:[0,0,1] op_sel_hi:[1,0,0] neg_lo:[1,0,0] neg_hi:[1,0,0]
	;; [unrolled: 2-line block ×3, first 2 shown]
	v_mov_b32_e32 v31, v3
	v_mov_b32_e32 v7, v5
	;; [unrolled: 1-line block ×3, first 2 shown]
	v_pk_add_f32 v[2:3], v[12:13], v[6:7] neg_lo:[0,1] neg_hi:[0,1]
	v_pk_add_f32 v[4:5], v[30:31], v[8:9] neg_lo:[0,1] neg_hi:[0,1]
	v_pk_fma_f32 v[6:7], v[12:13], 2.0, v[2:3] op_sel_hi:[1,0,1] neg_lo:[0,0,1] neg_hi:[0,0,1]
	v_pk_fma_f32 v[8:9], v[30:31], 2.0, v[4:5] op_sel_hi:[1,0,1] neg_lo:[0,0,1] neg_hi:[0,0,1]
	v_pk_add_f32 v[10:11], v[2:3], v[4:5] op_sel:[0,1] op_sel_hi:[1,0]
	v_pk_add_f32 v[4:5], v[2:3], v[4:5] op_sel:[0,1] op_sel_hi:[1,0] neg_lo:[0,1] neg_hi:[0,1]
	v_pk_add_f32 v[8:9], v[6:7], v[8:9] neg_lo:[0,1] neg_hi:[0,1]
	v_mov_b32_e32 v11, v5
	v_pk_fma_f32 v[2:3], v[2:3], 2.0, v[10:11] op_sel_hi:[1,0,1] neg_lo:[0,0,1] neg_hi:[0,0,1]
	v_pk_fma_f32 v[4:5], v[6:7], 2.0, v[8:9] op_sel_hi:[1,0,1] neg_lo:[0,0,1] neg_hi:[0,0,1]
	ds_write2_b64 v1, v[8:9], v[10:11] offset0:56 offset1:84
	ds_write2_b64 v1, v[4:5], v[2:3] offset1:28
	s_waitcnt lgkmcnt(0)
	s_barrier
	ds_read2_b64 v[0:3], v32 offset1:28
	ds_read2_b64 v[4:7], v32 offset0:56 offset1:84
	v_lshl_add_u64 v[8:9], v[16:17], 3, v[18:19]
	v_add_u32_e32 v16, s14, v16
	v_lshl_add_u64 v[10:11], v[16:17], 3, v[18:19]
	s_waitcnt lgkmcnt(1)
	global_store_dwordx2 v[20:21], v[0:1], off
	global_store_dwordx2 v[22:23], v[2:3], off
	s_waitcnt lgkmcnt(0)
	global_store_dwordx2 v[8:9], v[4:5], off
	global_store_dwordx2 v[10:11], v[6:7], off
	s_endpgm
	.section	.rodata,"a",@progbits
	.p2align	6, 0x0
	.amdhsa_kernel fft_rtc_back_len112_factors_4_7_4_wgs_448_tpt_28_sp_op_CI_CI_sbrc_z_xy_aligned
		.amdhsa_group_segment_fixed_size 0
		.amdhsa_private_segment_fixed_size 0
		.amdhsa_kernarg_size 104
		.amdhsa_user_sgpr_count 2
		.amdhsa_user_sgpr_dispatch_ptr 0
		.amdhsa_user_sgpr_queue_ptr 0
		.amdhsa_user_sgpr_kernarg_segment_ptr 1
		.amdhsa_user_sgpr_dispatch_id 0
		.amdhsa_user_sgpr_kernarg_preload_length 0
		.amdhsa_user_sgpr_kernarg_preload_offset 0
		.amdhsa_user_sgpr_private_segment_size 0
		.amdhsa_uses_dynamic_stack 0
		.amdhsa_enable_private_segment 0
		.amdhsa_system_sgpr_workgroup_id_x 1
		.amdhsa_system_sgpr_workgroup_id_y 0
		.amdhsa_system_sgpr_workgroup_id_z 0
		.amdhsa_system_sgpr_workgroup_info 0
		.amdhsa_system_vgpr_workitem_id 0
		.amdhsa_next_free_vgpr 60
		.amdhsa_next_free_sgpr 24
		.amdhsa_accum_offset 60
		.amdhsa_reserve_vcc 1
		.amdhsa_float_round_mode_32 0
		.amdhsa_float_round_mode_16_64 0
		.amdhsa_float_denorm_mode_32 3
		.amdhsa_float_denorm_mode_16_64 3
		.amdhsa_dx10_clamp 1
		.amdhsa_ieee_mode 1
		.amdhsa_fp16_overflow 0
		.amdhsa_tg_split 0
		.amdhsa_exception_fp_ieee_invalid_op 0
		.amdhsa_exception_fp_denorm_src 0
		.amdhsa_exception_fp_ieee_div_zero 0
		.amdhsa_exception_fp_ieee_overflow 0
		.amdhsa_exception_fp_ieee_underflow 0
		.amdhsa_exception_fp_ieee_inexact 0
		.amdhsa_exception_int_div_zero 0
	.end_amdhsa_kernel
	.text
.Lfunc_end0:
	.size	fft_rtc_back_len112_factors_4_7_4_wgs_448_tpt_28_sp_op_CI_CI_sbrc_z_xy_aligned, .Lfunc_end0-fft_rtc_back_len112_factors_4_7_4_wgs_448_tpt_28_sp_op_CI_CI_sbrc_z_xy_aligned
                                        ; -- End function
	.section	.AMDGPU.csdata,"",@progbits
; Kernel info:
; codeLenInByte = 2348
; NumSgprs: 30
; NumVgprs: 60
; NumAgprs: 0
; TotalNumVgprs: 60
; ScratchSize: 0
; MemoryBound: 0
; FloatMode: 240
; IeeeMode: 1
; LDSByteSize: 0 bytes/workgroup (compile time only)
; SGPRBlocks: 3
; VGPRBlocks: 7
; NumSGPRsForWavesPerEU: 30
; NumVGPRsForWavesPerEU: 60
; AccumOffset: 60
; Occupancy: 7
; WaveLimiterHint : 1
; COMPUTE_PGM_RSRC2:SCRATCH_EN: 0
; COMPUTE_PGM_RSRC2:USER_SGPR: 2
; COMPUTE_PGM_RSRC2:TRAP_HANDLER: 0
; COMPUTE_PGM_RSRC2:TGID_X_EN: 1
; COMPUTE_PGM_RSRC2:TGID_Y_EN: 0
; COMPUTE_PGM_RSRC2:TGID_Z_EN: 0
; COMPUTE_PGM_RSRC2:TIDIG_COMP_CNT: 0
; COMPUTE_PGM_RSRC3_GFX90A:ACCUM_OFFSET: 14
; COMPUTE_PGM_RSRC3_GFX90A:TG_SPLIT: 0
	.text
	.p2alignl 6, 3212836864
	.fill 256, 4, 3212836864
	.type	__hip_cuid_fa59dd602e2ee442,@object ; @__hip_cuid_fa59dd602e2ee442
	.section	.bss,"aw",@nobits
	.globl	__hip_cuid_fa59dd602e2ee442
__hip_cuid_fa59dd602e2ee442:
	.byte	0                               ; 0x0
	.size	__hip_cuid_fa59dd602e2ee442, 1

	.ident	"AMD clang version 19.0.0git (https://github.com/RadeonOpenCompute/llvm-project roc-6.4.0 25133 c7fe45cf4b819c5991fe208aaa96edf142730f1d)"
	.section	".note.GNU-stack","",@progbits
	.addrsig
	.addrsig_sym __hip_cuid_fa59dd602e2ee442
	.amdgpu_metadata
---
amdhsa.kernels:
  - .agpr_count:     0
    .args:
      - .actual_access:  read_only
        .address_space:  global
        .offset:         0
        .size:           8
        .value_kind:     global_buffer
      - .offset:         8
        .size:           8
        .value_kind:     by_value
      - .actual_access:  read_only
        .address_space:  global
        .offset:         16
        .size:           8
        .value_kind:     global_buffer
      - .actual_access:  read_only
        .address_space:  global
        .offset:         24
        .size:           8
        .value_kind:     global_buffer
      - .actual_access:  read_only
        .address_space:  global
        .offset:         32
        .size:           8
        .value_kind:     global_buffer
      - .offset:         40
        .size:           8
        .value_kind:     by_value
      - .actual_access:  read_only
        .address_space:  global
        .offset:         48
        .size:           8
        .value_kind:     global_buffer
      - .actual_access:  read_only
        .address_space:  global
        .offset:         56
        .size:           8
        .value_kind:     global_buffer
      - .offset:         64
        .size:           4
        .value_kind:     by_value
      - .actual_access:  read_only
        .address_space:  global
        .offset:         72
        .size:           8
        .value_kind:     global_buffer
      - .actual_access:  read_only
        .address_space:  global
        .offset:         80
        .size:           8
        .value_kind:     global_buffer
      - .actual_access:  read_only
        .address_space:  global
        .offset:         88
        .size:           8
        .value_kind:     global_buffer
      - .actual_access:  write_only
        .address_space:  global
        .offset:         96
        .size:           8
        .value_kind:     global_buffer
    .group_segment_fixed_size: 0
    .kernarg_segment_align: 8
    .kernarg_segment_size: 104
    .language:       OpenCL C
    .language_version:
      - 2
      - 0
    .max_flat_workgroup_size: 448
    .name:           fft_rtc_back_len112_factors_4_7_4_wgs_448_tpt_28_sp_op_CI_CI_sbrc_z_xy_aligned
    .private_segment_fixed_size: 0
    .sgpr_count:     30
    .sgpr_spill_count: 0
    .symbol:         fft_rtc_back_len112_factors_4_7_4_wgs_448_tpt_28_sp_op_CI_CI_sbrc_z_xy_aligned.kd
    .uniform_work_group_size: 1
    .uses_dynamic_stack: false
    .vgpr_count:     60
    .vgpr_spill_count: 0
    .wavefront_size: 64
amdhsa.target:   amdgcn-amd-amdhsa--gfx950
amdhsa.version:
  - 1
  - 2
...

	.end_amdgpu_metadata
